;; amdgpu-corpus repo=ROCm/rocFFT kind=compiled arch=gfx1030 opt=O3
	.text
	.amdgcn_target "amdgcn-amd-amdhsa--gfx1030"
	.amdhsa_code_object_version 6
	.protected	bluestein_single_back_len126_dim1_dp_op_CI_CI ; -- Begin function bluestein_single_back_len126_dim1_dp_op_CI_CI
	.globl	bluestein_single_back_len126_dim1_dp_op_CI_CI
	.p2align	8
	.type	bluestein_single_back_len126_dim1_dp_op_CI_CI,@function
bluestein_single_back_len126_dim1_dp_op_CI_CI: ; @bluestein_single_back_len126_dim1_dp_op_CI_CI
; %bb.0:
	s_load_dwordx4 s[0:3], s[4:5], 0x28
	v_mul_u32_u24_e32 v1, 0x619, v0
	v_lshrrev_b32_e32 v1, 16, v1
	v_mad_u64_u32 v[60:61], null, s6, 6, v[1:2]
	v_mov_b32_e32 v61, 0
	s_waitcnt lgkmcnt(0)
	v_cmp_gt_u64_e32 vcc_lo, s[0:1], v[60:61]
	s_and_saveexec_b32 s0, vcc_lo
	s_cbranch_execz .LBB0_23
; %bb.1:
	v_mul_hi_u32 v2, 0xaaaaaaab, v60
	v_mul_lo_u16 v1, v1, 42
	s_clause 0x1
	s_load_dwordx2 s[14:15], s[4:5], 0x0
	s_load_dwordx2 s[12:13], s[4:5], 0x38
	v_sub_nc_u16 v0, v0, v1
	v_lshrrev_b32_e32 v2, 2, v2
	v_and_b32_e32 v61, 0xffff, v0
	v_cmp_gt_u16_e32 vcc_lo, 21, v0
	v_mul_lo_u32 v2, v2, 6
	v_lshlrev_b32_e32 v63, 4, v61
	v_sub_nc_u32_e32 v1, v60, v2
	v_mul_u32_u24_e32 v62, 0x7e, v1
	v_lshlrev_b32_e32 v64, 4, v62
	s_and_saveexec_b32 s1, vcc_lo
	s_cbranch_execz .LBB0_3
; %bb.2:
	s_load_dwordx2 s[6:7], s[4:5], 0x18
	s_waitcnt lgkmcnt(0)
	s_load_dwordx4 s[8:11], s[6:7], 0x0
	s_waitcnt lgkmcnt(0)
	v_mad_u64_u32 v[0:1], null, s10, v60, 0
	v_mad_u64_u32 v[2:3], null, s8, v61, 0
	s_mul_i32 s6, s9, 0x150
	s_mul_hi_u32 s7, s8, 0x150
	s_add_i32 s7, s7, s6
	v_mad_u64_u32 v[4:5], null, s11, v60, v[1:2]
	v_mad_u64_u32 v[5:6], null, s9, v61, v[3:4]
	v_mov_b32_e32 v1, v4
	v_lshlrev_b64 v[0:1], 4, v[0:1]
	v_mov_b32_e32 v3, v5
	v_add_co_u32 v0, s0, s2, v0
	v_lshlrev_b64 v[2:3], 4, v[2:3]
	v_add_co_ci_u32_e64 v1, s0, s3, v1, s0
	s_mul_i32 s2, s8, 0x150
	v_add_co_u32 v16, s0, v0, v2
	v_add_co_ci_u32_e64 v17, s0, v1, v3, s0
	s_clause 0x1
	global_load_dwordx4 v[0:3], v63, s[14:15]
	global_load_dwordx4 v[4:7], v63, s[14:15] offset:336
	v_add_co_u32 v20, s0, v16, s2
	v_add_co_ci_u32_e64 v21, s0, s7, v17, s0
	s_clause 0x1
	global_load_dwordx4 v[8:11], v63, s[14:15] offset:672
	global_load_dwordx4 v[12:15], v63, s[14:15] offset:1008
	v_add_co_u32 v24, s0, v20, s2
	v_add_co_ci_u32_e64 v25, s0, s7, v21, s0
	s_clause 0x1
	global_load_dwordx4 v[16:19], v[16:17], off
	global_load_dwordx4 v[20:23], v[20:21], off
	v_add_co_u32 v28, s0, v24, s2
	v_add_co_ci_u32_e64 v29, s0, s7, v25, s0
	global_load_dwordx4 v[24:27], v[24:25], off
	v_add_co_u32 v32, s0, v28, s2
	v_add_co_ci_u32_e64 v33, s0, s7, v29, s0
	v_add_co_u32 v44, s0, v32, s2
	v_add_co_ci_u32_e64 v45, s0, s7, v33, s0
	s_clause 0x1
	global_load_dwordx4 v[28:31], v[28:29], off
	global_load_dwordx4 v[32:35], v[32:33], off
	s_clause 0x1
	global_load_dwordx4 v[36:39], v63, s[14:15] offset:1344
	global_load_dwordx4 v[40:43], v63, s[14:15] offset:1680
	global_load_dwordx4 v[44:47], v[44:45], off
	s_waitcnt vmcnt(7)
	v_mul_f64 v[48:49], v[18:19], v[2:3]
	v_mul_f64 v[2:3], v[16:17], v[2:3]
	s_waitcnt vmcnt(6)
	v_mul_f64 v[50:51], v[22:23], v[6:7]
	v_mul_f64 v[6:7], v[20:21], v[6:7]
	;; [unrolled: 3-line block ×6, first 2 shown]
	v_fma_f64 v[14:15], v[16:17], v[0:1], v[48:49]
	v_fma_f64 v[16:17], v[18:19], v[0:1], -v[2:3]
	v_fma_f64 v[0:1], v[20:21], v[4:5], v[50:51]
	v_fma_f64 v[2:3], v[22:23], v[4:5], -v[6:7]
	;; [unrolled: 2-line block ×6, first 2 shown]
	v_lshl_add_u32 v12, v61, 4, v64
	v_add_nc_u32_e32 v13, v64, v63
	ds_write_b128 v12, v[14:17]
	ds_write_b128 v13, v[0:3] offset:336
	ds_write_b128 v13, v[4:7] offset:672
	;; [unrolled: 1-line block ×5, first 2 shown]
.LBB0_3:
	s_or_b32 exec_lo, exec_lo, s1
	s_waitcnt lgkmcnt(0)
	s_barrier
	buffer_gl0_inv
                                        ; implicit-def: $vgpr0_vgpr1
                                        ; implicit-def: $vgpr4_vgpr5
                                        ; implicit-def: $vgpr8_vgpr9
                                        ; implicit-def: $vgpr16_vgpr17
                                        ; implicit-def: $vgpr12_vgpr13
                                        ; implicit-def: $vgpr20_vgpr21
	s_and_saveexec_b32 s0, vcc_lo
	s_cbranch_execz .LBB0_5
; %bb.4:
	v_lshl_add_u32 v20, v62, 4, v63
	ds_read_b128 v[0:3], v20
	ds_read_b128 v[4:7], v20 offset:336
	ds_read_b128 v[8:11], v20 offset:672
	;; [unrolled: 1-line block ×5, first 2 shown]
.LBB0_5:
	s_or_b32 exec_lo, exec_lo, s0
	s_waitcnt lgkmcnt(0)
	v_add_f64 v[24:25], v[18:19], v[22:23]
	v_add_f64 v[26:27], v[16:17], v[20:21]
	v_add_f64 v[28:29], v[18:19], -v[22:23]
	v_add_f64 v[30:31], v[16:17], -v[20:21]
	s_mov_b32 s0, 0xe8584caa
	s_mov_b32 s1, 0x3febb67a
	;; [unrolled: 1-line block ×4, first 2 shown]
	v_add_f64 v[32:33], v[8:9], v[12:13]
	v_add_f64 v[34:35], v[10:11], v[14:15]
	v_mul_lo_u16 v69, v61, 6
	s_barrier
	buffer_gl0_inv
	v_fma_f64 v[24:25], v[24:25], -0.5, v[6:7]
	v_fma_f64 v[26:27], v[26:27], -0.5, v[4:5]
	v_add_f64 v[4:5], v[4:5], v[16:17]
	v_add_f64 v[6:7], v[6:7], v[18:19]
	v_fma_f64 v[36:37], v[30:31], s[2:3], v[24:25]
	v_fma_f64 v[38:39], v[28:29], s[2:3], v[26:27]
	;; [unrolled: 1-line block ×4, first 2 shown]
	v_add_f64 v[28:29], v[0:1], v[8:9]
	v_add_f64 v[30:31], v[10:11], -v[14:15]
	v_add_f64 v[10:11], v[2:3], v[10:11]
	v_fma_f64 v[0:1], v[32:33], -0.5, v[0:1]
	v_add_f64 v[8:9], v[8:9], -v[12:13]
	v_fma_f64 v[2:3], v[34:35], -0.5, v[2:3]
	v_add_f64 v[4:5], v[4:5], v[20:21]
	v_add_f64 v[6:7], v[6:7], v[22:23]
	v_mul_f64 v[16:17], v[36:37], s[0:1]
	v_mul_f64 v[18:19], v[38:39], -0.5
	v_mul_f64 v[32:33], v[26:27], s[2:3]
	v_mul_f64 v[34:35], v[24:25], -0.5
	v_add_f64 v[12:13], v[28:29], v[12:13]
	v_add_f64 v[10:11], v[10:11], v[14:15]
	v_fma_f64 v[14:15], v[30:31], s[0:1], v[0:1]
	v_fma_f64 v[0:1], v[30:31], s[2:3], v[0:1]
	v_fma_f64 v[20:21], v[8:9], s[2:3], v[2:3]
	v_fma_f64 v[2:3], v[8:9], s[0:1], v[2:3]
	v_fma_f64 v[8:9], v[26:27], 0.5, v[16:17]
	v_fma_f64 v[16:17], v[24:25], s[0:1], v[18:19]
	v_fma_f64 v[18:19], v[36:37], 0.5, v[32:33]
	v_fma_f64 v[22:23], v[38:39], s[2:3], v[34:35]
	v_add_f64 v[24:25], v[12:13], v[4:5]
	v_add_f64 v[32:33], v[12:13], -v[4:5]
	v_add_f64 v[26:27], v[10:11], v[6:7]
	v_add_f64 v[34:35], v[10:11], -v[6:7]
	s_load_dwordx2 s[2:3], s[4:5], 0x8
	v_add_f64 v[28:29], v[14:15], v[8:9]
	v_add_f64 v[36:37], v[0:1], v[16:17]
	;; [unrolled: 1-line block ×4, first 2 shown]
	v_add_f64 v[40:41], v[14:15], -v[8:9]
	v_add_f64 v[44:45], v[0:1], -v[16:17]
	;; [unrolled: 1-line block ×4, first 2 shown]
	s_and_saveexec_b32 s0, vcc_lo
	s_cbranch_execz .LBB0_7
; %bb.6:
	v_and_b32_e32 v0, 0xffff, v69
	v_add_lshl_u32 v0, v62, v0, 4
	ds_write_b128 v0, v[24:27]
	ds_write_b128 v0, v[28:31] offset:16
	ds_write_b128 v0, v[36:39] offset:32
	;; [unrolled: 1-line block ×5, first 2 shown]
.LBB0_7:
	s_or_b32 exec_lo, exec_lo, s0
	s_load_dwordx2 s[4:5], s[4:5], 0x20
	v_cmp_gt_u16_e64 s0, 18, v61
	v_add_lshl_u32 v65, v62, v61, 4
	s_waitcnt lgkmcnt(0)
	s_barrier
	buffer_gl0_inv
                                        ; implicit-def: $vgpr48_vgpr49
	s_and_saveexec_b32 s1, s0
	s_cbranch_execz .LBB0_9
; %bb.8:
	ds_read_b128 v[24:27], v65
	ds_read_b128 v[28:31], v65 offset:288
	ds_read_b128 v[36:39], v65 offset:576
	;; [unrolled: 1-line block ×6, first 2 shown]
.LBB0_9:
	s_or_b32 exec_lo, exec_lo, s1
	v_and_b32_e32 v0, 0xff, v61
	v_mov_b32_e32 v1, 6
	s_mov_b32 s10, 0xe976ee23
	s_mov_b32 s6, 0x36b3c0b5
	;; [unrolled: 1-line block ×3, first 2 shown]
	v_mul_lo_u16 v0, 0xab, v0
	s_mov_b32 s7, 0x3fac98ee
	s_mov_b32 s8, 0x37e14327
	;; [unrolled: 1-line block ×4, first 2 shown]
	v_lshrrev_b16 v66, 10, v0
	s_mov_b32 s16, 0xb247c609
	s_mov_b32 s18, 0xaaaaaaaa
	;; [unrolled: 1-line block ×3, first 2 shown]
	v_mul_lo_u16 v0, v66, 6
	v_sub_nc_u16 v67, v61, v0
	v_mul_u32_u24_sdwa v0, v67, v1 dst_sel:DWORD dst_unused:UNUSED_PAD src0_sel:BYTE_0 src1_sel:DWORD
	v_lshlrev_b32_e32 v8, 4, v0
	s_clause 0x5
	global_load_dwordx4 v[4:7], v8, s[2:3]
	global_load_dwordx4 v[0:3], v8, s[2:3] offset:16
	global_load_dwordx4 v[20:23], v8, s[2:3] offset:80
	;; [unrolled: 1-line block ×5, first 2 shown]
	s_waitcnt vmcnt(0) lgkmcnt(0)
	s_barrier
	buffer_gl0_inv
	v_mul_f64 v[52:53], v[30:31], v[6:7]
	v_mul_f64 v[54:55], v[28:29], v[6:7]
	;; [unrolled: 1-line block ×12, first 2 shown]
	v_fma_f64 v[28:29], v[28:29], v[4:5], -v[52:53]
	v_fma_f64 v[30:31], v[30:31], v[4:5], v[54:55]
	v_fma_f64 v[36:37], v[36:37], v[0:1], -v[56:57]
	v_fma_f64 v[38:39], v[38:39], v[0:1], v[58:59]
	v_fma_f64 v[48:49], v[48:49], v[20:21], -v[70:71]
	v_fma_f64 v[44:45], v[44:45], v[16:17], -v[72:73]
	v_fma_f64 v[50:51], v[50:51], v[20:21], v[74:75]
	v_fma_f64 v[46:47], v[46:47], v[16:17], v[76:77]
	v_fma_f64 v[32:33], v[32:33], v[12:13], -v[78:79]
	v_fma_f64 v[34:35], v[34:35], v[12:13], v[80:81]
	v_fma_f64 v[40:41], v[40:41], v[8:9], -v[82:83]
	v_fma_f64 v[42:43], v[42:43], v[8:9], v[84:85]
	v_add_f64 v[52:53], v[28:29], v[48:49]
	v_add_f64 v[54:55], v[36:37], v[44:45]
	;; [unrolled: 1-line block ×4, first 2 shown]
	v_add_f64 v[36:37], v[36:37], -v[44:45]
	v_add_f64 v[38:39], v[38:39], -v[46:47]
	v_add_f64 v[70:71], v[32:33], v[40:41]
	v_add_f64 v[72:73], v[34:35], v[42:43]
	v_add_f64 v[32:33], v[40:41], -v[32:33]
	v_add_f64 v[34:35], v[42:43], -v[34:35]
	;; [unrolled: 1-line block ×4, first 2 shown]
	v_add_f64 v[40:41], v[54:55], v[52:53]
	v_add_f64 v[42:43], v[58:59], v[56:57]
	v_add_f64 v[44:45], v[70:71], -v[54:55]
	v_add_f64 v[46:47], v[72:73], -v[58:59]
	;; [unrolled: 1-line block ×6, first 2 shown]
	v_add_f64 v[36:37], v[32:33], v[36:37]
	v_add_f64 v[38:39], v[34:35], v[38:39]
	v_add_f64 v[32:33], v[28:29], -v[32:33]
	v_add_f64 v[34:35], v[30:31], -v[34:35]
	v_add_f64 v[40:41], v[70:71], v[40:41]
	v_add_f64 v[70:71], v[52:53], -v[70:71]
	v_add_f64 v[42:43], v[72:73], v[42:43]
	v_add_f64 v[72:73], v[56:57], -v[72:73]
	v_add_f64 v[52:53], v[54:55], -v[52:53]
	v_add_f64 v[54:55], v[58:59], -v[56:57]
	v_mul_f64 v[56:57], v[44:45], s[6:7]
	v_mul_f64 v[48:49], v[48:49], s[10:11]
	;; [unrolled: 1-line block ×3, first 2 shown]
	s_mov_b32 s10, 0x429ad128
	v_mul_f64 v[58:59], v[46:47], s[6:7]
	s_mov_b32 s11, 0x3febfeb5
	v_add_f64 v[36:37], v[36:37], v[28:29]
	v_mul_f64 v[78:79], v[74:75], s[10:11]
	v_mul_f64 v[80:81], v[76:77], s[10:11]
	v_add_f64 v[38:39], v[38:39], v[30:31]
	v_add_f64 v[24:25], v[24:25], v[40:41]
	v_mul_f64 v[70:71], v[70:71], s[8:9]
	v_add_f64 v[26:27], v[26:27], v[42:43]
	v_mul_f64 v[72:73], v[72:73], s[8:9]
	s_mov_b32 s9, 0x3fe77f67
	s_mov_b32 s8, 0x5476071b
	v_fma_f64 v[56:57], v[52:53], s[8:9], -v[56:57]
	v_fma_f64 v[30:31], v[74:75], s[10:11], -v[48:49]
	v_fma_f64 v[28:29], v[32:33], s[16:17], v[48:49]
	v_fma_f64 v[58:59], v[54:55], s[8:9], -v[58:59]
	s_mov_b32 s9, 0xbfe77f67
	v_fma_f64 v[48:49], v[34:35], s[16:17], v[50:51]
	s_mov_b32 s17, 0xbfd5d0dc
	v_fma_f64 v[50:51], v[76:77], s[10:11], -v[50:51]
	v_fma_f64 v[32:33], v[32:33], s[16:17], -v[78:79]
	;; [unrolled: 1-line block ×3, first 2 shown]
	v_fma_f64 v[40:41], v[40:41], s[18:19], v[24:25]
	v_fma_f64 v[52:53], v[52:53], s[8:9], -v[70:71]
	v_fma_f64 v[42:43], v[42:43], s[18:19], v[26:27]
	v_fma_f64 v[54:55], v[54:55], s[8:9], -v[72:73]
	v_fma_f64 v[44:45], v[44:45], s[6:7], v[70:71]
	v_fma_f64 v[46:47], v[46:47], s[6:7], v[72:73]
	s_mov_b32 s6, 0x37c3f68c
	s_mov_b32 s7, 0x3fdc38aa
	v_fma_f64 v[28:29], v[36:37], s[6:7], v[28:29]
	v_fma_f64 v[70:71], v[36:37], s[6:7], v[30:31]
	;; [unrolled: 1-line block ×5, first 2 shown]
	v_add_f64 v[74:75], v[56:57], v[40:41]
	v_fma_f64 v[56:57], v[36:37], s[6:7], v[32:33]
	v_add_f64 v[76:77], v[58:59], v[42:43]
	v_add_f64 v[50:51], v[52:53], v[40:41]
	;; [unrolled: 1-line block ×5, first 2 shown]
	v_add_f64 v[40:41], v[74:75], -v[72:73]
	v_add_f64 v[36:37], v[72:73], v[74:75]
	v_add_f64 v[42:43], v[70:71], v[76:77]
	v_add_f64 v[38:39], v[76:77], -v[70:71]
	v_add_f64 v[44:45], v[50:51], -v[48:49]
	v_add_f64 v[46:47], v[56:57], v[58:59]
	v_add_f64 v[32:33], v[52:53], -v[30:31]
	v_add_f64 v[34:35], v[28:29], v[54:55]
	s_and_saveexec_b32 s1, s0
	s_cbranch_execz .LBB0_11
; %bb.10:
	v_add_f64 v[56:57], v[58:59], -v[56:57]
	v_mov_b32_e32 v58, 42
	v_add_f64 v[72:73], v[54:55], -v[28:29]
	v_add_f64 v[70:71], v[30:31], v[52:53]
	v_add_f64 v[54:55], v[48:49], v[50:51]
	v_mul_u32_u24_sdwa v28, v66, v58 dst_sel:DWORD dst_unused:UNUSED_PAD src0_sel:WORD_0 src1_sel:DWORD
	v_add_nc_u32_sdwa v28, v28, v67 dst_sel:DWORD dst_unused:UNUSED_PAD src0_sel:DWORD src1_sel:BYTE_0
	v_add_lshl_u32 v28, v62, v28, 4
	ds_write_b128 v28, v[24:27]
	ds_write_b128 v28, v[40:43] offset:288
	ds_write_b128 v28, v[36:39] offset:384
	;; [unrolled: 1-line block ×6, first 2 shown]
.LBB0_11:
	s_or_b32 exec_lo, exec_lo, s1
	v_lshlrev_b32_e32 v24, 5, v61
	s_load_dwordx4 s[4:7], s[4:5], 0x0
	s_waitcnt lgkmcnt(0)
	s_barrier
	buffer_gl0_inv
	s_clause 0x1
	global_load_dwordx4 v[28:31], v24, s[2:3] offset:576
	global_load_dwordx4 v[24:27], v24, s[2:3] offset:592
	ds_read_b128 v[48:51], v65 offset:672
	ds_read_b128 v[52:55], v65 offset:1344
	s_mov_b32 s2, 0xe8584caa
	s_mov_b32 s3, 0x3febb67a
	;; [unrolled: 1-line block ×4, first 2 shown]
	v_lshl_add_u32 v68, v61, 4, v64
	s_waitcnt vmcnt(1) lgkmcnt(1)
	v_mul_f64 v[56:57], v[50:51], v[30:31]
	s_waitcnt vmcnt(0) lgkmcnt(0)
	v_mul_f64 v[58:59], v[54:55], v[26:27]
	v_mul_f64 v[70:71], v[48:49], v[30:31]
	;; [unrolled: 1-line block ×3, first 2 shown]
	v_fma_f64 v[56:57], v[48:49], v[28:29], -v[56:57]
	v_fma_f64 v[52:53], v[52:53], v[24:25], -v[58:59]
	v_fma_f64 v[58:59], v[50:51], v[28:29], v[70:71]
	v_fma_f64 v[54:55], v[54:55], v[24:25], v[72:73]
	ds_read_b128 v[48:51], v65
	v_add_f64 v[70:71], v[56:57], v[52:53]
	s_waitcnt lgkmcnt(0)
	v_add_f64 v[74:75], v[48:49], v[56:57]
	v_add_f64 v[72:73], v[58:59], v[54:55]
	v_add_f64 v[76:77], v[58:59], -v[54:55]
	v_add_f64 v[58:59], v[50:51], v[58:59]
	v_add_f64 v[78:79], v[56:57], -v[52:53]
	v_fma_f64 v[70:71], v[70:71], -0.5, v[48:49]
	v_add_f64 v[48:49], v[74:75], v[52:53]
	v_fma_f64 v[72:73], v[72:73], -0.5, v[50:51]
	v_add_f64 v[50:51], v[58:59], v[54:55]
	v_fma_f64 v[52:53], v[76:77], s[2:3], v[70:71]
	v_fma_f64 v[56:57], v[76:77], s[8:9], v[70:71]
	;; [unrolled: 1-line block ×4, first 2 shown]
	ds_write_b128 v68, v[48:51]
	ds_write_b128 v68, v[52:55] offset:672
	ds_write_b128 v68, v[56:59] offset:1344
	s_waitcnt lgkmcnt(0)
	s_barrier
	buffer_gl0_inv
	s_and_saveexec_b32 s1, vcc_lo
	s_cbranch_execz .LBB0_13
; %bb.12:
	s_add_u32 s2, s14, 0x7e0
	s_addc_u32 s3, s15, 0
	s_clause 0x5
	global_load_dwordx4 v[70:73], v63, s[14:15] offset:2016
	global_load_dwordx4 v[74:77], v63, s[2:3] offset:336
	;; [unrolled: 1-line block ×6, first 2 shown]
	ds_read_b128 v[94:97], v68
	ds_read_b128 v[98:101], v68 offset:336
	ds_read_b128 v[102:105], v68 offset:672
	;; [unrolled: 1-line block ×5, first 2 shown]
	s_waitcnt vmcnt(5) lgkmcnt(5)
	v_mul_f64 v[118:119], v[96:97], v[72:73]
	v_mul_f64 v[72:73], v[94:95], v[72:73]
	s_waitcnt vmcnt(4) lgkmcnt(4)
	v_mul_f64 v[120:121], v[100:101], v[76:77]
	v_mul_f64 v[76:77], v[98:99], v[76:77]
	;; [unrolled: 3-line block ×6, first 2 shown]
	v_fma_f64 v[92:93], v[94:95], v[70:71], -v[118:119]
	v_fma_f64 v[94:95], v[96:97], v[70:71], v[72:73]
	v_fma_f64 v[70:71], v[98:99], v[74:75], -v[120:121]
	v_fma_f64 v[72:73], v[100:101], v[74:75], v[76:77]
	v_fma_f64 v[74:75], v[102:103], v[78:79], -v[122:123]
	v_fma_f64 v[76:77], v[104:105], v[78:79], v[80:81]
	v_fma_f64 v[78:79], v[106:107], v[82:83], -v[124:125]
	v_fma_f64 v[80:81], v[108:109], v[82:83], v[84:85]
	v_fma_f64 v[82:83], v[110:111], v[86:87], -v[126:127]
	v_fma_f64 v[84:85], v[112:113], v[86:87], v[88:89]
	v_fma_f64 v[86:87], v[114:115], v[90:91], -v[128:129]
	v_fma_f64 v[88:89], v[116:117], v[90:91], v[130:131]
	ds_write_b128 v68, v[92:95]
	ds_write_b128 v68, v[70:73] offset:336
	ds_write_b128 v68, v[74:77] offset:672
	;; [unrolled: 1-line block ×5, first 2 shown]
.LBB0_13:
	s_or_b32 exec_lo, exec_lo, s1
	s_waitcnt lgkmcnt(0)
	s_barrier
	buffer_gl0_inv
	s_and_saveexec_b32 s1, vcc_lo
	s_cbranch_execz .LBB0_15
; %bb.14:
	ds_read_b128 v[48:51], v68
	ds_read_b128 v[52:55], v68 offset:336
	ds_read_b128 v[56:59], v68 offset:672
	;; [unrolled: 1-line block ×5, first 2 shown]
.LBB0_15:
	s_or_b32 exec_lo, exec_lo, s1
	s_waitcnt lgkmcnt(0)
	v_add_f64 v[70:71], v[42:43], v[46:47]
	v_add_f64 v[72:73], v[40:41], v[44:45]
	v_add_f64 v[74:75], v[40:41], -v[44:45]
	s_mov_b32 s2, 0xe8584caa
	s_mov_b32 s3, 0xbfebb67a
	;; [unrolled: 1-line block ×4, first 2 shown]
	v_add_f64 v[76:77], v[56:57], v[36:37]
	v_add_f64 v[78:79], v[58:59], v[38:39]
	v_add_f64 v[80:81], v[42:43], -v[46:47]
	v_add_f64 v[84:85], v[58:59], -v[38:39]
	v_add_f64 v[58:59], v[50:51], v[58:59]
	v_add_f64 v[40:41], v[52:53], v[40:41]
	;; [unrolled: 1-line block ×3, first 2 shown]
	s_barrier
	buffer_gl0_inv
	v_fma_f64 v[70:71], v[70:71], -0.5, v[54:55]
	v_fma_f64 v[72:73], v[72:73], -0.5, v[52:53]
	;; [unrolled: 1-line block ×3, first 2 shown]
	v_add_f64 v[58:59], v[58:59], v[38:39]
	v_add_f64 v[40:41], v[40:41], v[44:45]
	;; [unrolled: 1-line block ×3, first 2 shown]
	v_fma_f64 v[82:83], v[74:75], s[8:9], v[70:71]
	v_fma_f64 v[70:71], v[74:75], s[2:3], v[70:71]
	v_add_f64 v[74:75], v[48:49], v[56:57]
	v_add_f64 v[56:57], v[56:57], -v[36:37]
	v_fma_f64 v[48:49], v[76:77], -0.5, v[48:49]
	v_fma_f64 v[52:53], v[80:81], s[2:3], v[72:73]
	v_fma_f64 v[54:55], v[80:81], s[8:9], v[72:73]
	v_add_f64 v[38:39], v[58:59], v[42:43]
	v_mul_f64 v[72:73], v[82:83], s[2:3]
	v_mul_f64 v[76:77], v[70:71], s[2:3]
	v_mul_f64 v[78:79], v[82:83], 0.5
	v_mul_f64 v[70:71], v[70:71], -0.5
	v_add_f64 v[74:75], v[74:75], v[36:37]
	v_fma_f64 v[80:81], v[84:85], s[2:3], v[48:49]
	v_fma_f64 v[82:83], v[84:85], s[8:9], v[48:49]
	;; [unrolled: 1-line block ×4, first 2 shown]
	v_add_f64 v[50:51], v[58:59], -v[42:43]
	v_fma_f64 v[56:57], v[52:53], 0.5, v[72:73]
	v_fma_f64 v[72:73], v[54:55], -0.5, v[76:77]
	v_fma_f64 v[76:77], v[52:53], s[8:9], v[78:79]
	v_fma_f64 v[70:71], v[54:55], s[8:9], v[70:71]
	v_add_f64 v[36:37], v[74:75], v[40:41]
	v_add_f64 v[48:49], v[74:75], -v[40:41]
	v_add_f64 v[40:41], v[80:81], v[56:57]
	v_add_f64 v[44:45], v[82:83], v[72:73]
	;; [unrolled: 1-line block ×4, first 2 shown]
	v_add_f64 v[52:53], v[80:81], -v[56:57]
	v_add_f64 v[56:57], v[82:83], -v[72:73]
	;; [unrolled: 1-line block ×4, first 2 shown]
	s_and_saveexec_b32 s1, vcc_lo
	s_cbranch_execz .LBB0_17
; %bb.16:
	v_and_b32_e32 v69, 0xffff, v69
	v_lshl_add_u32 v69, v69, 4, v64
	ds_write_b128 v69, v[36:39]
	ds_write_b128 v69, v[40:43] offset:16
	ds_write_b128 v69, v[44:47] offset:32
	;; [unrolled: 1-line block ×5, first 2 shown]
.LBB0_17:
	s_or_b32 exec_lo, exec_lo, s1
	s_waitcnt lgkmcnt(0)
	s_barrier
	buffer_gl0_inv
	s_and_saveexec_b32 s1, s0
	s_cbranch_execz .LBB0_19
; %bb.18:
	ds_read_b128 v[36:39], v65
	ds_read_b128 v[40:43], v65 offset:288
	ds_read_b128 v[44:47], v65 offset:576
	;; [unrolled: 1-line block ×6, first 2 shown]
.LBB0_19:
	s_or_b32 exec_lo, exec_lo, s1
	s_waitcnt lgkmcnt(0)
	s_barrier
	buffer_gl0_inv
	s_and_saveexec_b32 s1, s0
	s_cbranch_execz .LBB0_21
; %bb.20:
	v_mul_f64 v[69:70], v[22:23], v[32:33]
	v_mul_f64 v[71:72], v[6:7], v[40:41]
	;; [unrolled: 1-line block ×12, first 2 shown]
	s_mov_b32 s2, 0xe976ee23
	s_mov_b32 s3, 0x3fe11646
	;; [unrolled: 1-line block ×10, first 2 shown]
	v_fma_f64 v[34:35], v[20:21], v[34:35], -v[69:70]
	v_fma_f64 v[42:43], v[4:5], v[42:43], -v[71:72]
	;; [unrolled: 1-line block ×4, first 2 shown]
	v_fma_f64 v[4:5], v[4:5], v[40:41], v[6:7]
	v_fma_f64 v[6:7], v[20:21], v[32:33], v[22:23]
	v_fma_f64 v[0:1], v[0:1], v[44:45], v[2:3]
	v_fma_f64 v[2:3], v[16:17], v[56:57], v[18:19]
	v_fma_f64 v[16:17], v[8:9], v[52:53], v[77:78]
	v_fma_f64 v[18:19], v[12:13], v[48:49], v[79:80]
	v_fma_f64 v[12:13], v[12:13], v[50:51], -v[14:15]
	v_fma_f64 v[8:9], v[8:9], v[54:55], -v[10:11]
	v_add_f64 v[10:11], v[42:43], v[34:35]
	v_add_f64 v[14:15], v[46:47], v[58:59]
	;; [unrolled: 1-line block ×3, first 2 shown]
	v_add_f64 v[4:5], v[4:5], -v[6:7]
	v_add_f64 v[22:23], v[0:1], v[2:3]
	v_add_f64 v[0:1], v[0:1], -v[2:3]
	v_add_f64 v[32:33], v[16:17], -v[18:19]
	v_add_f64 v[16:17], v[18:19], v[16:17]
	v_add_f64 v[2:3], v[12:13], v[8:9]
	v_add_f64 v[8:9], v[8:9], -v[12:13]
	v_add_f64 v[12:13], v[46:47], -v[58:59]
	;; [unrolled: 1-line block ×3, first 2 shown]
	v_add_f64 v[6:7], v[14:15], v[10:11]
	v_add_f64 v[34:35], v[22:23], v[20:21]
	v_add_f64 v[48:49], v[0:1], -v[4:5]
	v_add_f64 v[40:41], v[32:33], -v[0:1]
	;; [unrolled: 1-line block ×10, first 2 shown]
	v_add_f64 v[32:33], v[32:33], v[0:1]
	v_add_f64 v[56:57], v[18:19], -v[8:9]
	v_add_f64 v[8:9], v[8:9], v[12:13]
	v_add_f64 v[6:7], v[2:3], v[6:7]
	;; [unrolled: 1-line block ×3, first 2 shown]
	v_add_f64 v[16:17], v[16:17], -v[22:23]
	v_mul_f64 v[40:41], v[40:41], s[2:3]
	v_mul_f64 v[20:21], v[46:47], s[8:9]
	v_mul_f64 v[42:43], v[42:43], s[8:9]
	v_mul_f64 v[22:23], v[48:49], s[10:11]
	v_mul_f64 v[44:45], v[44:45], s[2:3]
	s_mov_b32 s2, 0x36b3c0b5
	s_mov_b32 s3, 0x3fac98ee
	;; [unrolled: 1-line block ×3, first 2 shown]
	v_mul_f64 v[12:13], v[50:51], s[2:3]
	s_mov_b32 s8, 0xb247c609
	v_add_f64 v[4:5], v[32:33], v[4:5]
	v_add_f64 v[8:9], v[8:9], v[18:19]
	;; [unrolled: 1-line block ×3, first 2 shown]
	v_mul_f64 v[38:39], v[52:53], s[10:11]
	v_add_f64 v[0:1], v[36:37], v[34:35]
	v_mul_f64 v[36:37], v[16:17], s[2:3]
	v_fma_f64 v[32:33], v[54:55], s[8:9], v[40:41]
	v_fma_f64 v[58:59], v[14:15], s[18:19], -v[20:21]
	v_fma_f64 v[46:47], v[50:51], s[2:3], v[42:43]
	v_fma_f64 v[42:43], v[10:11], s[18:19], -v[42:43]
	s_mov_b32 s19, 0x3fe77f67
	v_fma_f64 v[50:51], v[56:57], s[8:9], v[44:45]
	s_mov_b32 s9, 0x3fd5d0dc
	v_fma_f64 v[40:41], v[48:49], s[10:11], -v[40:41]
	v_fma_f64 v[10:11], v[10:11], s[18:19], -v[12:13]
	v_fma_f64 v[12:13], v[16:17], s[2:3], v[20:21]
	v_fma_f64 v[22:23], v[54:55], s[8:9], -v[22:23]
	v_fma_f64 v[16:17], v[52:53], s[10:11], -v[44:45]
	s_mov_b32 s2, 0x37c3f68c
	s_mov_b32 s3, 0xbfdc38aa
	v_mov_b32_e32 v48, 42
	v_fma_f64 v[6:7], v[6:7], s[16:17], v[2:3]
	v_fma_f64 v[18:19], v[56:57], s[8:9], -v[38:39]
	v_fma_f64 v[20:21], v[34:35], s[16:17], v[0:1]
	v_fma_f64 v[14:15], v[14:15], s[18:19], -v[36:37]
	v_fma_f64 v[32:33], v[4:5], s[2:3], v[32:33]
	v_fma_f64 v[34:35], v[4:5], s[2:3], v[40:41]
	;; [unrolled: 1-line block ×4, first 2 shown]
	v_add_f64 v[36:37], v[46:47], v[6:7]
	v_add_f64 v[38:39], v[10:11], v[6:7]
	v_add_f64 v[22:23], v[42:43], v[6:7]
	v_fma_f64 v[42:43], v[8:9], s[2:3], v[16:17]
	v_add_f64 v[44:45], v[12:13], v[20:21]
	v_fma_f64 v[8:9], v[8:9], s[2:3], v[18:19]
	v_add_f64 v[46:47], v[58:59], v[20:21]
	v_add_f64 v[12:13], v[14:15], v[20:21]
	;; [unrolled: 1-line block ×3, first 2 shown]
	v_add_f64 v[14:15], v[38:39], -v[34:35]
	v_add_f64 v[18:19], v[34:35], v[38:39]
	v_add_f64 v[34:35], v[36:37], -v[32:33]
	v_add_f64 v[32:33], v[40:41], v[44:45]
	v_add_f64 v[10:11], v[4:5], v[22:23]
	v_add_f64 v[22:23], v[22:23], -v[4:5]
	v_add_f64 v[20:21], v[8:9], v[46:47]
	v_add_f64 v[16:17], v[12:13], -v[42:43]
	;; [unrolled: 2-line block ×3, first 2 shown]
	v_add_f64 v[4:5], v[44:45], -v[40:41]
	v_mul_u32_u24_sdwa v36, v66, v48 dst_sel:DWORD dst_unused:UNUSED_PAD src0_sel:WORD_0 src1_sel:DWORD
	v_add_nc_u32_sdwa v36, v36, v67 dst_sel:DWORD dst_unused:UNUSED_PAD src0_sel:DWORD src1_sel:BYTE_0
	v_lshl_add_u32 v36, v36, 4, v64
	ds_write_b128 v36, v[0:3]
	ds_write_b128 v36, v[32:35] offset:96
	ds_write_b128 v36, v[20:23] offset:192
	;; [unrolled: 1-line block ×6, first 2 shown]
.LBB0_21:
	s_or_b32 exec_lo, exec_lo, s1
	s_waitcnt lgkmcnt(0)
	s_barrier
	buffer_gl0_inv
	ds_read_b128 v[0:3], v65 offset:672
	ds_read_b128 v[4:7], v65 offset:1344
	s_mov_b32 s0, 0xe8584caa
	s_mov_b32 s1, 0xbfebb67a
	;; [unrolled: 1-line block ×4, first 2 shown]
	s_waitcnt lgkmcnt(1)
	v_mul_f64 v[8:9], v[30:31], v[2:3]
	s_waitcnt lgkmcnt(0)
	v_mul_f64 v[10:11], v[26:27], v[6:7]
	v_mul_f64 v[12:13], v[30:31], v[0:1]
	;; [unrolled: 1-line block ×3, first 2 shown]
	v_fma_f64 v[8:9], v[28:29], v[0:1], v[8:9]
	v_fma_f64 v[4:5], v[24:25], v[4:5], v[10:11]
	v_fma_f64 v[10:11], v[28:29], v[2:3], -v[12:13]
	v_fma_f64 v[6:7], v[24:25], v[6:7], -v[14:15]
	ds_read_b128 v[0:3], v65
	v_add_f64 v[12:13], v[8:9], v[4:5]
	s_waitcnt lgkmcnt(0)
	v_add_f64 v[16:17], v[0:1], v[8:9]
	v_add_f64 v[14:15], v[10:11], v[6:7]
	v_add_f64 v[18:19], v[10:11], -v[6:7]
	v_add_f64 v[10:11], v[2:3], v[10:11]
	v_add_f64 v[20:21], v[8:9], -v[4:5]
	v_fma_f64 v[12:13], v[12:13], -0.5, v[0:1]
	v_add_f64 v[0:1], v[16:17], v[4:5]
	v_fma_f64 v[14:15], v[14:15], -0.5, v[2:3]
	v_add_f64 v[2:3], v[10:11], v[6:7]
	v_fma_f64 v[4:5], v[18:19], s[0:1], v[12:13]
	v_fma_f64 v[8:9], v[18:19], s[2:3], v[12:13]
	;; [unrolled: 1-line block ×4, first 2 shown]
	ds_write_b128 v68, v[0:3]
	ds_write_b128 v68, v[4:7] offset:672
	ds_write_b128 v68, v[8:11] offset:1344
	s_waitcnt lgkmcnt(0)
	s_barrier
	buffer_gl0_inv
	s_and_b32 exec_lo, exec_lo, vcc_lo
	s_cbranch_execz .LBB0_23
; %bb.22:
	s_clause 0x5
	global_load_dwordx4 v[0:3], v63, s[14:15]
	global_load_dwordx4 v[4:7], v63, s[14:15] offset:336
	global_load_dwordx4 v[8:11], v63, s[14:15] offset:672
	;; [unrolled: 1-line block ×5, first 2 shown]
	v_mad_u64_u32 v[48:49], null, s6, v60, 0
	v_mad_u64_u32 v[50:51], null, s4, v61, 0
	v_lshl_add_u32 v44, v62, 4, v63
	ds_read_b128 v[24:27], v68
	ds_read_b128 v[28:31], v44 offset:336
	ds_read_b128 v[32:35], v44 offset:672
	ds_read_b128 v[36:39], v44 offset:1008
	ds_read_b128 v[40:43], v44 offset:1344
	ds_read_b128 v[44:47], v44 offset:1680
	s_mov_b32 s0, 0x10410410
	v_mad_u64_u32 v[52:53], null, s7, v60, v[49:50]
	s_mov_b32 s1, 0x3f804104
	s_mul_i32 s2, s5, 0x150
	s_mul_hi_u32 s3, s4, 0x150
	s_mulk_i32 s4, 0x150
	s_add_i32 s3, s3, s2
	v_mad_u64_u32 v[53:54], null, s5, v61, v[51:52]
	v_mov_b32_e32 v49, v52
	v_lshlrev_b64 v[48:49], 4, v[48:49]
	v_mov_b32_e32 v51, v53
	v_add_co_u32 v48, vcc_lo, s12, v48
	v_lshlrev_b64 v[50:51], 4, v[50:51]
	v_add_co_ci_u32_e32 v49, vcc_lo, s13, v49, vcc_lo
	s_waitcnt vmcnt(5) lgkmcnt(5)
	v_mul_f64 v[52:53], v[26:27], v[2:3]
	v_mul_f64 v[2:3], v[24:25], v[2:3]
	s_waitcnt vmcnt(4) lgkmcnt(4)
	v_mul_f64 v[54:55], v[30:31], v[6:7]
	v_mul_f64 v[6:7], v[28:29], v[6:7]
	;; [unrolled: 3-line block ×6, first 2 shown]
	v_fma_f64 v[24:25], v[24:25], v[0:1], v[52:53]
	v_fma_f64 v[2:3], v[0:1], v[26:27], -v[2:3]
	v_fma_f64 v[26:27], v[28:29], v[4:5], v[54:55]
	v_fma_f64 v[6:7], v[4:5], v[30:31], -v[6:7]
	;; [unrolled: 2-line block ×6, first 2 shown]
	v_add_co_u32 v36, vcc_lo, v48, v50
	v_add_co_ci_u32_e32 v37, vcc_lo, v49, v51, vcc_lo
	v_add_co_u32 v38, vcc_lo, v36, s4
	v_add_co_ci_u32_e32 v39, vcc_lo, s3, v37, vcc_lo
	v_mul_f64 v[0:1], v[24:25], s[0:1]
	v_mul_f64 v[2:3], v[2:3], s[0:1]
	;; [unrolled: 1-line block ×12, first 2 shown]
	v_add_co_u32 v24, vcc_lo, v38, s4
	v_add_co_ci_u32_e32 v25, vcc_lo, s3, v39, vcc_lo
	v_add_co_u32 v26, vcc_lo, v24, s4
	v_add_co_ci_u32_e32 v27, vcc_lo, s3, v25, vcc_lo
	v_add_co_u32 v28, vcc_lo, v26, s4
	v_add_co_ci_u32_e32 v29, vcc_lo, s3, v27, vcc_lo
	v_add_co_u32 v30, vcc_lo, v28, s4
	v_add_co_ci_u32_e32 v31, vcc_lo, s3, v29, vcc_lo
	global_store_dwordx4 v[36:37], v[0:3], off
	global_store_dwordx4 v[38:39], v[4:7], off
	;; [unrolled: 1-line block ×6, first 2 shown]
.LBB0_23:
	s_endpgm
	.section	.rodata,"a",@progbits
	.p2align	6, 0x0
	.amdhsa_kernel bluestein_single_back_len126_dim1_dp_op_CI_CI
		.amdhsa_group_segment_fixed_size 12096
		.amdhsa_private_segment_fixed_size 0
		.amdhsa_kernarg_size 104
		.amdhsa_user_sgpr_count 6
		.amdhsa_user_sgpr_private_segment_buffer 1
		.amdhsa_user_sgpr_dispatch_ptr 0
		.amdhsa_user_sgpr_queue_ptr 0
		.amdhsa_user_sgpr_kernarg_segment_ptr 1
		.amdhsa_user_sgpr_dispatch_id 0
		.amdhsa_user_sgpr_flat_scratch_init 0
		.amdhsa_user_sgpr_private_segment_size 0
		.amdhsa_wavefront_size32 1
		.amdhsa_uses_dynamic_stack 0
		.amdhsa_system_sgpr_private_segment_wavefront_offset 0
		.amdhsa_system_sgpr_workgroup_id_x 1
		.amdhsa_system_sgpr_workgroup_id_y 0
		.amdhsa_system_sgpr_workgroup_id_z 0
		.amdhsa_system_sgpr_workgroup_info 0
		.amdhsa_system_vgpr_workitem_id 0
		.amdhsa_next_free_vgpr 132
		.amdhsa_next_free_sgpr 20
		.amdhsa_reserve_vcc 1
		.amdhsa_reserve_flat_scratch 0
		.amdhsa_float_round_mode_32 0
		.amdhsa_float_round_mode_16_64 0
		.amdhsa_float_denorm_mode_32 3
		.amdhsa_float_denorm_mode_16_64 3
		.amdhsa_dx10_clamp 1
		.amdhsa_ieee_mode 1
		.amdhsa_fp16_overflow 0
		.amdhsa_workgroup_processor_mode 1
		.amdhsa_memory_ordered 1
		.amdhsa_forward_progress 0
		.amdhsa_shared_vgpr_count 0
		.amdhsa_exception_fp_ieee_invalid_op 0
		.amdhsa_exception_fp_denorm_src 0
		.amdhsa_exception_fp_ieee_div_zero 0
		.amdhsa_exception_fp_ieee_overflow 0
		.amdhsa_exception_fp_ieee_underflow 0
		.amdhsa_exception_fp_ieee_inexact 0
		.amdhsa_exception_int_div_zero 0
	.end_amdhsa_kernel
	.text
.Lfunc_end0:
	.size	bluestein_single_back_len126_dim1_dp_op_CI_CI, .Lfunc_end0-bluestein_single_back_len126_dim1_dp_op_CI_CI
                                        ; -- End function
	.section	.AMDGPU.csdata,"",@progbits
; Kernel info:
; codeLenInByte = 6108
; NumSgprs: 22
; NumVgprs: 132
; ScratchSize: 0
; MemoryBound: 0
; FloatMode: 240
; IeeeMode: 1
; LDSByteSize: 12096 bytes/workgroup (compile time only)
; SGPRBlocks: 2
; VGPRBlocks: 16
; NumSGPRsForWavesPerEU: 22
; NumVGPRsForWavesPerEU: 132
; Occupancy: 7
; WaveLimiterHint : 1
; COMPUTE_PGM_RSRC2:SCRATCH_EN: 0
; COMPUTE_PGM_RSRC2:USER_SGPR: 6
; COMPUTE_PGM_RSRC2:TRAP_HANDLER: 0
; COMPUTE_PGM_RSRC2:TGID_X_EN: 1
; COMPUTE_PGM_RSRC2:TGID_Y_EN: 0
; COMPUTE_PGM_RSRC2:TGID_Z_EN: 0
; COMPUTE_PGM_RSRC2:TIDIG_COMP_CNT: 0
	.text
	.p2alignl 6, 3214868480
	.fill 48, 4, 3214868480
	.type	__hip_cuid_6d1527addd8fef55,@object ; @__hip_cuid_6d1527addd8fef55
	.section	.bss,"aw",@nobits
	.globl	__hip_cuid_6d1527addd8fef55
__hip_cuid_6d1527addd8fef55:
	.byte	0                               ; 0x0
	.size	__hip_cuid_6d1527addd8fef55, 1

	.ident	"AMD clang version 19.0.0git (https://github.com/RadeonOpenCompute/llvm-project roc-6.4.0 25133 c7fe45cf4b819c5991fe208aaa96edf142730f1d)"
	.section	".note.GNU-stack","",@progbits
	.addrsig
	.addrsig_sym __hip_cuid_6d1527addd8fef55
	.amdgpu_metadata
---
amdhsa.kernels:
  - .args:
      - .actual_access:  read_only
        .address_space:  global
        .offset:         0
        .size:           8
        .value_kind:     global_buffer
      - .actual_access:  read_only
        .address_space:  global
        .offset:         8
        .size:           8
        .value_kind:     global_buffer
      - .actual_access:  read_only
        .address_space:  global
        .offset:         16
        .size:           8
        .value_kind:     global_buffer
      - .actual_access:  read_only
        .address_space:  global
        .offset:         24
        .size:           8
        .value_kind:     global_buffer
      - .actual_access:  read_only
        .address_space:  global
        .offset:         32
        .size:           8
        .value_kind:     global_buffer
      - .offset:         40
        .size:           8
        .value_kind:     by_value
      - .address_space:  global
        .offset:         48
        .size:           8
        .value_kind:     global_buffer
      - .address_space:  global
        .offset:         56
        .size:           8
        .value_kind:     global_buffer
      - .address_space:  global
        .offset:         64
        .size:           8
        .value_kind:     global_buffer
      - .address_space:  global
        .offset:         72
        .size:           8
        .value_kind:     global_buffer
      - .offset:         80
        .size:           4
        .value_kind:     by_value
      - .address_space:  global
        .offset:         88
        .size:           8
        .value_kind:     global_buffer
      - .address_space:  global
        .offset:         96
        .size:           8
        .value_kind:     global_buffer
    .group_segment_fixed_size: 12096
    .kernarg_segment_align: 8
    .kernarg_segment_size: 104
    .language:       OpenCL C
    .language_version:
      - 2
      - 0
    .max_flat_workgroup_size: 252
    .name:           bluestein_single_back_len126_dim1_dp_op_CI_CI
    .private_segment_fixed_size: 0
    .sgpr_count:     22
    .sgpr_spill_count: 0
    .symbol:         bluestein_single_back_len126_dim1_dp_op_CI_CI.kd
    .uniform_work_group_size: 1
    .uses_dynamic_stack: false
    .vgpr_count:     132
    .vgpr_spill_count: 0
    .wavefront_size: 32
    .workgroup_processor_mode: 1
amdhsa.target:   amdgcn-amd-amdhsa--gfx1030
amdhsa.version:
  - 1
  - 2
...

	.end_amdgpu_metadata
